;; amdgpu-corpus repo=ROCm/rocFFT kind=compiled arch=gfx906 opt=O3
	.text
	.amdgcn_target "amdgcn-amd-amdhsa--gfx906"
	.amdhsa_code_object_version 6
	.protected	bluestein_single_back_len576_dim1_dp_op_CI_CI ; -- Begin function bluestein_single_back_len576_dim1_dp_op_CI_CI
	.globl	bluestein_single_back_len576_dim1_dp_op_CI_CI
	.p2align	8
	.type	bluestein_single_back_len576_dim1_dp_op_CI_CI,@function
bluestein_single_back_len576_dim1_dp_op_CI_CI: ; @bluestein_single_back_len576_dim1_dp_op_CI_CI
; %bb.0:
	s_load_dwordx4 s[0:3], s[4:5], 0x28
	v_mul_u32_u24_e32 v1, 0x2ab, v0
	v_add_u32_sdwa v116, s6, v1 dst_sel:DWORD dst_unused:UNUSED_PAD src0_sel:DWORD src1_sel:WORD_1
	v_mov_b32_e32 v117, 0
	s_waitcnt lgkmcnt(0)
	v_cmp_gt_u64_e32 vcc, s[0:1], v[116:117]
	s_and_saveexec_b64 s[0:1], vcc
	s_cbranch_execz .LBB0_15
; %bb.1:
	s_load_dwordx2 s[14:15], s[4:5], 0x0
	s_load_dwordx2 s[12:13], s[4:5], 0x38
	s_movk_i32 s0, 0x60
	v_mul_lo_u16_sdwa v1, v1, s0 dst_sel:DWORD dst_unused:UNUSED_PAD src0_sel:WORD_1 src1_sel:DWORD
	v_sub_u16_e32 v118, v0, v1
	v_cmp_gt_u16_e64 s[0:1], 36, v118
	v_lshlrev_b32_e32 v117, 4, v118
	s_and_saveexec_b64 s[6:7], s[0:1]
	s_cbranch_execz .LBB0_3
; %bb.2:
	s_load_dwordx2 s[8:9], s[4:5], 0x18
	s_waitcnt lgkmcnt(0)
	s_load_dwordx4 s[8:11], s[8:9], 0x0
	s_waitcnt lgkmcnt(0)
	v_mad_u64_u32 v[0:1], s[16:17], s10, v116, 0
	v_mad_u64_u32 v[2:3], s[16:17], s8, v118, 0
	;; [unrolled: 1-line block ×4, first 2 shown]
	v_mov_b32_e32 v1, v4
	v_lshlrev_b64 v[0:1], 4, v[0:1]
	v_mov_b32_e32 v3, v5
	v_mov_b32_e32 v6, s3
	v_lshlrev_b64 v[2:3], 4, v[2:3]
	v_add_co_u32_e32 v0, vcc, s2, v0
	v_addc_co_u32_e32 v1, vcc, v6, v1, vcc
	v_add_co_u32_e32 v12, vcc, v0, v2
	v_addc_co_u32_e32 v13, vcc, v1, v3, vcc
	v_mov_b32_e32 v0, s15
	v_add_co_u32_e32 v56, vcc, s14, v117
	s_mul_i32 s2, s9, 0x240
	s_mul_hi_u32 s3, s8, 0x240
	v_addc_co_u32_e32 v57, vcc, 0, v0, vcc
	s_add_i32 s2, s3, s2
	s_mul_i32 s3, s8, 0x240
	v_mov_b32_e32 v4, s2
	v_add_co_u32_e32 v14, vcc, s3, v12
	v_addc_co_u32_e32 v15, vcc, v13, v4, vcc
	global_load_dwordx4 v[0:3], v117, s[14:15]
	global_load_dwordx4 v[4:7], v[12:13], off
	global_load_dwordx4 v[8:11], v[14:15], off
	v_mov_b32_e32 v12, s2
	v_add_co_u32_e32 v16, vcc, s3, v14
	v_addc_co_u32_e32 v17, vcc, v15, v12, vcc
	v_mov_b32_e32 v19, s2
	v_add_co_u32_e32 v18, vcc, s3, v16
	v_addc_co_u32_e32 v19, vcc, v17, v19, vcc
	global_load_dwordx4 v[12:15], v117, s[14:15] offset:576
	global_load_dwordx4 v[32:35], v117, s[14:15] offset:1152
	global_load_dwordx4 v[52:55], v[16:17], off
	global_load_dwordx4 v[48:51], v[18:19], off
	v_mov_b32_e32 v17, s2
	v_add_co_u32_e32 v16, vcc, s3, v18
	v_addc_co_u32_e32 v17, vcc, v19, v17, vcc
	global_load_dwordx4 v[58:61], v[16:17], off
	global_load_dwordx4 v[62:65], v117, s[14:15] offset:1728
	global_load_dwordx4 v[66:69], v117, s[14:15] offset:2304
	v_mov_b32_e32 v18, s2
	v_add_co_u32_e32 v16, vcc, s3, v16
	v_addc_co_u32_e32 v17, vcc, v17, v18, vcc
	global_load_dwordx4 v[70:73], v[16:17], off
	v_add_co_u32_e32 v16, vcc, s3, v16
	v_addc_co_u32_e32 v17, vcc, v17, v18, vcc
	global_load_dwordx4 v[74:77], v[16:17], off
	global_load_dwordx4 v[78:81], v117, s[14:15] offset:2880
	global_load_dwordx4 v[82:85], v117, s[14:15] offset:3456
	v_add_co_u32_e32 v16, vcc, s3, v16
	v_addc_co_u32_e32 v17, vcc, v17, v18, vcc
	global_load_dwordx4 v[86:89], v[16:17], off
	global_load_dwordx4 v[90:93], v117, s[14:15] offset:4032
	v_add_co_u32_e32 v16, vcc, s3, v16
	v_addc_co_u32_e32 v17, vcc, v17, v18, vcc
	s_movk_i32 s8, 0x1000
	v_add_co_u32_e32 v40, vcc, s8, v56
	v_addc_co_u32_e32 v41, vcc, 0, v57, vcc
	global_load_dwordx4 v[94:97], v[16:17], off
	v_add_co_u32_e32 v16, vcc, s3, v16
	v_addc_co_u32_e32 v17, vcc, v17, v18, vcc
	global_load_dwordx4 v[98:101], v[16:17], off
	global_load_dwordx4 v[102:105], v[40:41], off offset:512
	global_load_dwordx4 v[106:109], v[40:41], off offset:1088
	v_add_co_u32_e32 v16, vcc, s3, v16
	v_addc_co_u32_e32 v17, vcc, v17, v18, vcc
	global_load_dwordx4 v[110:113], v[16:17], off
	v_add_co_u32_e32 v16, vcc, s3, v16
	v_addc_co_u32_e32 v17, vcc, v17, v18, vcc
	v_add_co_u32_e32 v20, vcc, s3, v16
	v_addc_co_u32_e32 v21, vcc, v17, v18, vcc
	v_mov_b32_e32 v22, s2
	v_add_co_u32_e32 v36, vcc, s3, v20
	v_addc_co_u32_e32 v37, vcc, v21, v22, vcc
	v_mov_b32_e32 v38, s2
	v_add_co_u32_e32 v44, vcc, s3, v36
	v_addc_co_u32_e32 v45, vcc, v37, v38, vcc
	global_load_dwordx4 v[119:122], v[16:17], off
	global_load_dwordx4 v[123:126], v[40:41], off offset:1664
	global_load_dwordx4 v[127:130], v[40:41], off offset:2240
	v_mov_b32_e32 v46, s2
	global_load_dwordx4 v[16:19], v[20:21], off
	s_nop 0
	global_load_dwordx4 v[20:23], v[36:37], off
	global_load_dwordx4 v[28:31], v[40:41], off offset:2816
	global_load_dwordx4 v[24:27], v[40:41], off offset:3392
	s_nop 0
	global_load_dwordx4 v[36:39], v[44:45], off
	s_nop 0
	global_load_dwordx4 v[40:43], v[40:41], off offset:3968
	v_add_co_u32_e32 v44, vcc, s3, v44
	v_addc_co_u32_e32 v45, vcc, v45, v46, vcc
	s_movk_i32 s2, 0x2000
	v_add_co_u32_e32 v56, vcc, s2, v56
	v_addc_co_u32_e32 v57, vcc, 0, v57, vcc
	global_load_dwordx4 v[44:47], v[44:45], off
	s_waitcnt vmcnt(29)
	v_mul_f64 v[114:115], v[4:5], v[2:3]
	global_load_dwordx4 v[131:134], v[56:57], off offset:448
	v_mul_f64 v[56:57], v[6:7], v[2:3]
	s_waitcnt vmcnt(28)
	v_mul_f64 v[135:136], v[10:11], v[14:15]
	v_mul_f64 v[14:15], v[8:9], v[14:15]
	s_waitcnt vmcnt(26)
	v_mul_f64 v[137:138], v[54:55], v[34:35]
	;; [unrolled: 3-line block ×3, first 2 shown]
	v_mul_f64 v[64:65], v[48:49], v[64:65]
	v_fma_f64 v[2:3], v[4:5], v[0:1], v[56:57]
	v_fma_f64 v[4:5], v[6:7], v[0:1], -v[114:115]
	v_fma_f64 v[6:7], v[8:9], v[12:13], v[135:136]
	v_fma_f64 v[8:9], v[10:11], v[12:13], -v[14:15]
	s_waitcnt vmcnt(22)
	v_mul_f64 v[0:1], v[60:61], v[68:69]
	v_mul_f64 v[14:15], v[58:59], v[68:69]
	v_fma_f64 v[10:11], v[52:53], v[32:33], v[137:138]
	v_fma_f64 v[12:13], v[54:55], v[32:33], -v[34:35]
	v_fma_f64 v[32:33], v[48:49], v[62:63], v[139:140]
	s_waitcnt vmcnt(19)
	v_mul_f64 v[52:53], v[72:73], v[80:81]
	v_mul_f64 v[54:55], v[70:71], v[80:81]
	v_fma_f64 v[34:35], v[50:51], v[62:63], -v[64:65]
	s_waitcnt vmcnt(18)
	v_mul_f64 v[56:57], v[76:77], v[84:85]
	v_mul_f64 v[62:63], v[74:75], v[84:85]
	v_fma_f64 v[48:49], v[58:59], v[66:67], v[0:1]
	s_waitcnt vmcnt(16)
	v_mul_f64 v[64:65], v[88:89], v[92:93]
	v_mul_f64 v[68:69], v[86:87], v[92:93]
	v_fma_f64 v[50:51], v[60:61], v[66:67], -v[14:15]
	v_fma_f64 v[52:53], v[70:71], v[78:79], v[52:53]
	v_fma_f64 v[54:55], v[72:73], v[78:79], -v[54:55]
	v_fma_f64 v[56:57], v[74:75], v[82:83], v[56:57]
	;; [unrolled: 2-line block ×3, first 2 shown]
	v_fma_f64 v[62:63], v[88:89], v[90:91], -v[68:69]
	ds_write_b128 v117, v[2:5]
	ds_write_b128 v117, v[6:9] offset:576
	ds_write_b128 v117, v[10:13] offset:1152
	ds_write_b128 v117, v[32:35] offset:1728
	ds_write_b128 v117, v[48:51] offset:2304
	ds_write_b128 v117, v[52:55] offset:2880
	ds_write_b128 v117, v[56:59] offset:3456
	ds_write_b128 v117, v[60:63] offset:4032
	s_waitcnt vmcnt(13)
	v_mul_f64 v[0:1], v[96:97], v[104:105]
	v_mul_f64 v[2:3], v[94:95], v[104:105]
	s_waitcnt vmcnt(12)
	v_mul_f64 v[4:5], v[100:101], v[108:109]
	v_mul_f64 v[6:7], v[98:99], v[108:109]
	v_fma_f64 v[0:1], v[94:95], v[102:103], v[0:1]
	v_fma_f64 v[2:3], v[96:97], v[102:103], -v[2:3]
	v_fma_f64 v[4:5], v[98:99], v[106:107], v[4:5]
	v_fma_f64 v[6:7], v[100:101], v[106:107], -v[6:7]
	s_waitcnt vmcnt(9)
	v_mul_f64 v[8:9], v[112:113], v[125:126]
	v_mul_f64 v[10:11], v[110:111], v[125:126]
	s_waitcnt vmcnt(8)
	v_mul_f64 v[12:13], v[121:122], v[129:130]
	v_mul_f64 v[14:15], v[119:120], v[129:130]
	;; [unrolled: 3-line block ×5, first 2 shown]
	v_fma_f64 v[8:9], v[110:111], v[123:124], v[8:9]
	v_fma_f64 v[10:11], v[112:113], v[123:124], -v[10:11]
	v_fma_f64 v[12:13], v[119:120], v[127:128], v[12:13]
	v_fma_f64 v[14:15], v[121:122], v[127:128], -v[14:15]
	;; [unrolled: 2-line block ×3, first 2 shown]
	v_fma_f64 v[20:21], v[20:21], v[24:25], v[34:35]
	s_waitcnt vmcnt(0)
	v_mul_f64 v[50:51], v[46:47], v[133:134]
	v_mul_f64 v[52:53], v[44:45], v[133:134]
	v_fma_f64 v[22:23], v[22:23], v[24:25], -v[26:27]
	v_fma_f64 v[24:25], v[36:37], v[40:41], v[48:49]
	v_fma_f64 v[26:27], v[38:39], v[40:41], -v[42:43]
	v_fma_f64 v[28:29], v[44:45], v[131:132], v[50:51]
	v_fma_f64 v[30:31], v[46:47], v[131:132], -v[52:53]
	ds_write_b128 v117, v[0:3] offset:4608
	ds_write_b128 v117, v[4:7] offset:5184
	;; [unrolled: 1-line block ×8, first 2 shown]
.LBB0_3:
	s_or_b64 exec, exec, s[6:7]
	s_load_dwordx2 s[6:7], s[4:5], 0x20
	s_load_dwordx2 s[2:3], s[4:5], 0x8
	s_waitcnt lgkmcnt(0)
	s_barrier
	s_waitcnt lgkmcnt(0)
                                        ; implicit-def: $vgpr0_vgpr1
                                        ; implicit-def: $vgpr20_vgpr21
                                        ; implicit-def: $vgpr32_vgpr33
                                        ; implicit-def: $vgpr52_vgpr53
                                        ; implicit-def: $vgpr60_vgpr61
                                        ; implicit-def: $vgpr48_vgpr49
                                        ; implicit-def: $vgpr56_vgpr57
                                        ; implicit-def: $vgpr36_vgpr37
                                        ; implicit-def: $vgpr44_vgpr45
                                        ; implicit-def: $vgpr40_vgpr41
                                        ; implicit-def: $vgpr28_vgpr29
                                        ; implicit-def: $vgpr16_vgpr17
                                        ; implicit-def: $vgpr24_vgpr25
                                        ; implicit-def: $vgpr8_vgpr9
                                        ; implicit-def: $vgpr12_vgpr13
                                        ; implicit-def: $vgpr4_vgpr5
	s_and_saveexec_b64 s[4:5], s[0:1]
	s_cbranch_execz .LBB0_5
; %bb.4:
	ds_read_b128 v[0:3], v117
	ds_read_b128 v[4:7], v117 offset:576
	ds_read_b128 v[12:15], v117 offset:1152
	;; [unrolled: 1-line block ×15, first 2 shown]
.LBB0_5:
	s_or_b64 exec, exec, s[4:5]
	s_waitcnt lgkmcnt(7)
	v_add_f64 v[40:41], v[0:1], -v[40:41]
	v_add_f64 v[42:43], v[2:3], -v[42:43]
	s_waitcnt lgkmcnt(3)
	v_add_f64 v[56:57], v[24:25], -v[56:57]
	v_add_f64 v[58:59], v[26:27], -v[58:59]
	;; [unrolled: 1-line block ×4, first 2 shown]
	s_waitcnt lgkmcnt(1)
	v_add_f64 v[60:61], v[20:21], -v[60:61]
	v_add_f64 v[62:63], v[22:23], -v[62:63]
	v_fma_f64 v[0:1], v[0:1], 2.0, -v[40:41]
	v_fma_f64 v[2:3], v[2:3], 2.0, -v[42:43]
	;; [unrolled: 1-line block ×8, first 2 shown]
	v_add_f64 v[32:33], v[4:5], -v[32:33]
	v_add_f64 v[34:35], v[6:7], -v[34:35]
	;; [unrolled: 1-line block ×5, first 2 shown]
	s_waitcnt lgkmcnt(0)
	v_add_f64 v[52:53], v[28:29], -v[52:53]
	v_add_f64 v[38:39], v[10:11], -v[38:39]
	v_add_f64 v[54:55], v[30:31], -v[54:55]
	v_fma_f64 v[4:5], v[4:5], 2.0, -v[32:33]
	v_fma_f64 v[6:7], v[6:7], 2.0, -v[34:35]
	;; [unrolled: 1-line block ×6, first 2 shown]
	v_add_f64 v[24:25], v[0:1], -v[24:25]
	v_add_f64 v[26:27], v[2:3], -v[26:27]
	;; [unrolled: 1-line block ×3, first 2 shown]
	v_add_f64 v[56:57], v[42:43], v[56:57]
	v_add_f64 v[64:65], v[12:13], -v[20:21]
	v_add_f64 v[22:23], v[14:15], -v[22:23]
	;; [unrolled: 1-line block ×3, first 2 shown]
	v_add_f64 v[60:61], v[60:61], v[46:47]
	v_fma_f64 v[10:11], v[10:11], 2.0, -v[38:39]
	v_fma_f64 v[30:31], v[30:31], 2.0, -v[54:55]
	;; [unrolled: 1-line block ×10, first 2 shown]
	v_add_f64 v[44:45], v[4:5], -v[16:17]
	v_add_f64 v[46:47], v[6:7], -v[18:19]
	;; [unrolled: 1-line block ×3, first 2 shown]
	v_add_f64 v[48:49], v[48:49], v[34:35]
	v_add_f64 v[28:29], v[8:9], -v[28:29]
	v_add_f64 v[54:55], v[36:37], -v[54:55]
	v_add_f64 v[52:53], v[52:53], v[38:39]
	s_mov_b32 s4, 0x667f3bcd
	s_mov_b32 s5, 0xbfe6a09e
	;; [unrolled: 1-line block ×4, first 2 shown]
	v_add_f64 v[30:31], v[10:11], -v[30:31]
	v_fma_f64 v[70:71], v[4:5], 2.0, -v[44:45]
	v_fma_f64 v[72:73], v[6:7], 2.0, -v[46:47]
	;; [unrolled: 1-line block ×7, first 2 shown]
	v_fma_f64 v[4:5], v[12:13], s[4:5], v[40:41]
	v_fma_f64 v[6:7], v[14:15], s[4:5], v[42:43]
	;; [unrolled: 1-line block ×4, first 2 shown]
	v_add_f64 v[80:81], v[24:25], -v[22:23]
	v_add_f64 v[82:83], v[26:27], v[64:65]
	v_fma_f64 v[76:77], v[10:11], 2.0, -v[30:31]
	v_add_f64 v[16:17], v[68:69], -v[2:3]
	v_fma_f64 v[2:3], v[14:15], s[4:5], v[4:5]
	v_fma_f64 v[20:21], v[12:13], s[8:9], v[6:7]
	;; [unrolled: 1-line block ×4, first 2 shown]
	v_fma_f64 v[8:9], v[24:25], 2.0, -v[80:81]
	v_fma_f64 v[18:19], v[26:27], 2.0, -v[82:83]
	v_fma_f64 v[24:25], v[36:37], s[4:5], v[32:33]
	v_fma_f64 v[26:27], v[38:39], s[4:5], v[34:35]
	v_add_f64 v[0:1], v[66:67], -v[0:1]
	v_fma_f64 v[6:7], v[40:41], 2.0, -v[2:3]
	v_fma_f64 v[14:15], v[42:43], 2.0, -v[20:21]
	v_fma_f64 v[40:41], v[54:55], s[8:9], v[50:51]
	v_fma_f64 v[42:43], v[52:53], s[8:9], v[48:49]
	v_add_f64 v[62:63], v[70:71], -v[74:75]
	v_add_f64 v[60:61], v[72:73], -v[76:77]
	v_fma_f64 v[24:25], v[38:39], s[4:5], v[24:25]
	v_fma_f64 v[26:27], v[36:37], s[8:9], v[26:27]
	v_add_f64 v[30:31], v[44:45], -v[30:31]
	v_fma_f64 v[4:5], v[66:67], 2.0, -v[0:1]
	v_fma_f64 v[10:11], v[68:69], 2.0, -v[16:17]
	;; [unrolled: 1-line block ×3, first 2 shown]
	v_add_f64 v[28:29], v[28:29], v[46:47]
	v_fma_f64 v[36:37], v[52:53], s[4:5], v[40:41]
	v_fma_f64 v[38:39], v[54:55], s[8:9], v[42:43]
	v_fma_f64 v[40:41], v[70:71], 2.0, -v[62:63]
	v_fma_f64 v[42:43], v[72:73], 2.0, -v[60:61]
	;; [unrolled: 1-line block ×5, first 2 shown]
	s_mov_b32 s10, 0xcf328d46
	s_mov_b32 s11, 0xbfed906b
	v_fma_f64 v[22:23], v[56:57], 2.0, -v[86:87]
	v_fma_f64 v[56:57], v[46:47], 2.0, -v[28:29]
	;; [unrolled: 1-line block ×4, first 2 shown]
	v_fma_f64 v[52:53], v[32:33], s[10:11], v[6:7]
	v_add_f64 v[44:45], v[4:5], -v[40:41]
	v_add_f64 v[46:47], v[10:11], -v[42:43]
	v_fma_f64 v[40:41], v[34:35], s[10:11], v[14:15]
	v_fma_f64 v[42:43], v[58:59], s[4:5], v[8:9]
	s_mov_b32 s16, 0xa6aea964
	s_mov_b32 s17, 0xbfd87de2
	;; [unrolled: 1-line block ×6, first 2 shown]
	v_fma_f64 v[64:65], v[56:57], s[4:5], v[18:19]
	v_fma_f64 v[52:53], v[34:35], s[16:17], v[52:53]
	;; [unrolled: 1-line block ×11, first 2 shown]
	v_add_f64 v[60:61], v[0:1], -v[60:61]
	v_fma_f64 v[64:65], v[48:49], s[10:11], v[32:33]
	v_fma_f64 v[66:67], v[50:51], s[20:21], v[34:35]
	;; [unrolled: 1-line block ×8, first 2 shown]
	v_add_f64 v[62:63], v[16:17], v[62:63]
	v_lshlrev_b16_e32 v119, 4, v118
	v_fma_f64 v[68:69], v[26:27], s[10:11], v[32:33]
	v_fma_f64 v[70:71], v[24:25], s[20:21], v[34:35]
	v_fma_f64 v[40:41], v[80:81], 2.0, -v[72:73]
	v_fma_f64 v[42:43], v[82:83], 2.0, -v[74:75]
	;; [unrolled: 1-line block ×4, first 2 shown]
	s_barrier
	s_and_saveexec_b64 s[4:5], s[0:1]
	s_cbranch_execz .LBB0_7
; %bb.6:
	v_fma_f64 v[36:37], v[10:11], 2.0, -v[46:47]
	v_fma_f64 v[34:35], v[4:5], 2.0, -v[44:45]
	;; [unrolled: 1-line block ×12, first 2 shown]
	v_lshlrev_b32_e32 v0, 4, v119
	ds_write_b128 v0, v[34:37]
	ds_write_b128 v0, v[30:33] offset:16
	ds_write_b128 v0, v[26:29] offset:32
	;; [unrolled: 1-line block ×15, first 2 shown]
.LBB0_7:
	s_or_b64 exec, exec, s[4:5]
	v_mov_b32_e32 v85, s3
	v_and_b32_e32 v86, 15, v118
	s_movk_i32 s10, 0x50
	v_mov_b32_e32 v84, s2
	v_mad_u64_u32 v[20:21], s[2:3], v86, s10, v[84:85]
	s_load_dwordx4 s[4:7], s[6:7], 0x0
	s_waitcnt lgkmcnt(0)
	s_barrier
	global_load_dwordx4 v[0:3], v[20:21], off
	global_load_dwordx4 v[8:11], v[20:21], off offset:16
	global_load_dwordx4 v[4:7], v[20:21], off offset:32
	;; [unrolled: 1-line block ×4, first 2 shown]
	ds_read_b128 v[20:23], v117
	ds_read_b128 v[24:27], v117 offset:1536
	ds_read_b128 v[28:31], v117 offset:3072
	;; [unrolled: 1-line block ×5, first 2 shown]
	v_lshrrev_b32_e32 v87, 4, v118
	v_mul_u32_u24_e32 v87, 0x60, v87
	v_or_b32_e32 v86, v87, v86
	v_lshlrev_b32_e32 v120, 4, v86
	s_mov_b32 s2, 0xe8584caa
	s_mov_b32 s3, 0x3febb67a
	;; [unrolled: 1-line block ×4, first 2 shown]
	v_mad_u64_u32 v[84:85], s[10:11], v118, s10, v[84:85]
	s_waitcnt vmcnt(0) lgkmcnt(0)
	s_barrier
	v_mul_f64 v[86:87], v[26:27], v[2:3]
	v_mul_f64 v[88:89], v[24:25], v[2:3]
	;; [unrolled: 1-line block ×10, first 2 shown]
	v_fma_f64 v[32:33], v[32:33], v[4:5], -v[92:93]
	v_fma_f64 v[34:35], v[34:35], v[4:5], v[94:95]
	v_fma_f64 v[82:83], v[82:83], v[12:13], v[96:97]
	v_fma_f64 v[80:81], v[80:81], v[12:13], -v[98:99]
	v_fma_f64 v[28:29], v[28:29], v[8:9], -v[90:91]
	;; [unrolled: 1-line block ×3, first 2 shown]
	v_fma_f64 v[26:27], v[26:27], v[0:1], v[88:89]
	v_fma_f64 v[30:31], v[30:31], v[8:9], v[100:101]
	v_fma_f64 v[36:37], v[36:37], v[16:17], -v[102:103]
	v_fma_f64 v[38:39], v[38:39], v[16:17], v[104:105]
	v_add_f64 v[86:87], v[34:35], v[82:83]
	v_add_f64 v[88:89], v[32:33], v[80:81]
	;; [unrolled: 1-line block ×3, first 2 shown]
	v_add_f64 v[98:99], v[34:35], -v[82:83]
	v_add_f64 v[100:101], v[32:33], -v[80:81]
	v_add_f64 v[96:97], v[22:23], v[30:31]
	v_add_f64 v[92:93], v[28:29], v[36:37]
	v_add_f64 v[94:95], v[30:31], -v[38:39]
	v_fma_f64 v[86:87], v[86:87], -0.5, v[26:27]
	v_fma_f64 v[88:89], v[88:89], -0.5, v[24:25]
	v_add_f64 v[30:31], v[30:31], v[38:39]
	v_add_f64 v[28:29], v[28:29], -v[36:37]
	v_add_f64 v[24:25], v[24:25], v[32:33]
	v_add_f64 v[26:27], v[26:27], v[34:35]
	v_add_f64 v[32:33], v[90:91], v[36:37]
	v_fma_f64 v[20:21], v[92:93], -0.5, v[20:21]
	v_fma_f64 v[34:35], v[100:101], s[8:9], v[86:87]
	v_fma_f64 v[36:37], v[98:99], s[8:9], v[88:89]
	;; [unrolled: 1-line block ×4, first 2 shown]
	v_fma_f64 v[22:23], v[30:31], -0.5, v[22:23]
	v_add_f64 v[26:27], v[26:27], v[82:83]
	v_add_f64 v[24:25], v[24:25], v[80:81]
	;; [unrolled: 1-line block ×3, first 2 shown]
	v_mul_f64 v[30:31], v[34:35], s[2:3]
	v_mul_f64 v[80:81], v[36:37], -0.5
	v_mul_f64 v[82:83], v[88:89], s[8:9]
	v_mul_f64 v[90:91], v[86:87], -0.5
	v_fma_f64 v[92:93], v[94:95], s[2:3], v[20:21]
	v_fma_f64 v[96:97], v[28:29], s[8:9], v[22:23]
	;; [unrolled: 1-line block ×4, first 2 shown]
	v_fma_f64 v[88:89], v[88:89], 0.5, v[30:31]
	v_fma_f64 v[80:81], v[86:87], s[2:3], v[80:81]
	v_fma_f64 v[82:83], v[34:35], 0.5, v[82:83]
	v_fma_f64 v[86:87], v[36:37], s[8:9], v[90:91]
	v_add_f64 v[20:21], v[32:33], v[24:25]
	v_add_f64 v[22:23], v[38:39], v[26:27]
	v_add_f64 v[24:25], v[32:33], -v[24:25]
	v_add_f64 v[26:27], v[38:39], -v[26:27]
	v_add_f64 v[28:29], v[92:93], v[88:89]
	v_add_f64 v[32:33], v[94:95], v[80:81]
	;; [unrolled: 1-line block ×4, first 2 shown]
	v_add_f64 v[36:37], v[92:93], -v[88:89]
	v_add_f64 v[38:39], v[96:97], -v[82:83]
	;; [unrolled: 1-line block ×4, first 2 shown]
	ds_write_b128 v120, v[20:23]
	ds_write_b128 v120, v[24:27] offset:768
	ds_write_b128 v120, v[28:31] offset:256
	;; [unrolled: 1-line block ×5, first 2 shown]
	s_waitcnt lgkmcnt(0)
	s_barrier
	global_load_dwordx4 v[24:27], v[84:85], off offset:1312
	global_load_dwordx4 v[20:23], v[84:85], off offset:1280
	;; [unrolled: 1-line block ×5, first 2 shown]
	ds_read_b128 v[80:83], v117 offset:4608
	ds_read_b128 v[84:87], v117 offset:3072
	ds_read_b128 v[88:91], v117 offset:1536
	ds_read_b128 v[92:95], v117 offset:7680
	ds_read_b128 v[96:99], v117 offset:6144
	ds_read_b128 v[100:103], v117
	s_waitcnt vmcnt(4) lgkmcnt(5)
	v_mul_f64 v[104:105], v[82:83], v[26:27]
	v_mul_f64 v[106:107], v[80:81], v[26:27]
	s_waitcnt vmcnt(2) lgkmcnt(2)
	v_mul_f64 v[110:111], v[94:95], v[30:31]
	v_mul_f64 v[112:113], v[92:93], v[30:31]
	;; [unrolled: 1-line block ×4, first 2 shown]
	s_waitcnt vmcnt(1)
	v_mul_f64 v[121:122], v[86:87], v[38:39]
	s_waitcnt vmcnt(0) lgkmcnt(1)
	v_mul_f64 v[123:124], v[98:99], v[34:35]
	v_fma_f64 v[80:81], v[80:81], v[24:25], -v[104:105]
	v_fma_f64 v[82:83], v[82:83], v[24:25], v[106:107]
	v_fma_f64 v[92:93], v[92:93], v[28:29], -v[110:111]
	v_fma_f64 v[94:95], v[94:95], v[28:29], v[112:113]
	v_mul_f64 v[125:126], v[84:85], v[38:39]
	v_mul_f64 v[127:128], v[96:97], v[34:35]
	v_fma_f64 v[84:85], v[84:85], v[36:37], -v[121:122]
	v_fma_f64 v[88:89], v[88:89], v[20:21], -v[108:109]
	v_fma_f64 v[90:91], v[90:91], v[20:21], v[114:115]
	v_fma_f64 v[96:97], v[96:97], v[32:33], -v[123:124]
	v_add_f64 v[106:107], v[80:81], v[92:93]
	v_add_f64 v[104:105], v[82:83], v[94:95]
	v_fma_f64 v[86:87], v[86:87], v[36:37], v[125:126]
	v_fma_f64 v[98:99], v[98:99], v[32:33], v[127:128]
	s_waitcnt lgkmcnt(0)
	v_add_f64 v[108:109], v[100:101], v[84:85]
	v_add_f64 v[112:113], v[88:89], v[80:81]
	v_add_f64 v[114:115], v[82:83], -v[94:95]
	v_add_f64 v[80:81], v[80:81], -v[92:93]
	v_fma_f64 v[88:89], v[106:107], -0.5, v[88:89]
	v_fma_f64 v[104:105], v[104:105], -0.5, v[90:91]
	v_add_f64 v[110:111], v[84:85], v[96:97]
	v_add_f64 v[82:83], v[90:91], v[82:83]
	;; [unrolled: 1-line block ×3, first 2 shown]
	v_add_f64 v[84:85], v[84:85], -v[96:97]
	v_add_f64 v[96:97], v[108:109], v[96:97]
	v_add_f64 v[121:122], v[102:103], v[86:87]
	v_fma_f64 v[108:109], v[114:115], s[8:9], v[88:89]
	v_fma_f64 v[106:107], v[80:81], s[8:9], v[104:105]
	;; [unrolled: 1-line block ×4, first 2 shown]
	v_add_f64 v[86:87], v[86:87], -v[98:99]
	v_fma_f64 v[100:101], v[110:111], -0.5, v[100:101]
	v_fma_f64 v[90:91], v[90:91], -0.5, v[102:103]
	v_add_f64 v[94:95], v[82:83], v[94:95]
	v_mul_f64 v[102:103], v[108:109], -0.5
	v_mul_f64 v[82:83], v[106:107], s[2:3]
	v_mul_f64 v[104:105], v[88:89], s[8:9]
	v_mul_f64 v[110:111], v[80:81], -0.5
	v_add_f64 v[98:99], v[121:122], v[98:99]
	v_add_f64 v[92:93], v[112:113], v[92:93]
	v_fma_f64 v[112:113], v[86:87], s[2:3], v[100:101]
	v_fma_f64 v[100:101], v[86:87], s[8:9], v[100:101]
	;; [unrolled: 1-line block ×4, first 2 shown]
	v_fma_f64 v[88:89], v[88:89], 0.5, v[82:83]
	v_fma_f64 v[90:91], v[80:81], s[2:3], v[102:103]
	v_fma_f64 v[102:103], v[106:107], 0.5, v[104:105]
	v_fma_f64 v[104:105], v[108:109], s[8:9], v[110:111]
	v_add_f64 v[80:81], v[96:97], v[92:93]
	v_add_f64 v[82:83], v[98:99], v[94:95]
	v_add_f64 v[96:97], v[96:97], -v[92:93]
	v_add_f64 v[98:99], v[98:99], -v[94:95]
	v_add_f64 v[92:93], v[112:113], v[88:89]
	v_add_f64 v[84:85], v[100:101], v[90:91]
	;; [unrolled: 1-line block ×4, first 2 shown]
	v_add_f64 v[88:89], v[112:113], -v[88:89]
	v_add_f64 v[100:101], v[100:101], -v[90:91]
	v_add_f64 v[90:91], v[114:115], -v[102:103]
	v_add_f64 v[102:103], v[121:122], -v[104:105]
	ds_write_b128 v117, v[80:83]
	ds_write_b128 v117, v[96:99] offset:4608
	ds_write_b128 v117, v[92:95] offset:1536
	;; [unrolled: 1-line block ×5, first 2 shown]
	s_waitcnt lgkmcnt(0)
	s_barrier
	s_and_saveexec_b64 s[8:9], s[0:1]
	s_cbranch_execz .LBB0_9
; %bb.8:
	v_mov_b32_e32 v104, s15
	v_add_co_u32_e32 v121, vcc, s14, v117
	v_addc_co_u32_e32 v122, vcc, 0, v104, vcc
	v_add_co_u32_e32 v155, vcc, 0x2400, v121
	v_addc_co_u32_e32 v156, vcc, 0, v122, vcc
	global_load_dwordx4 v[104:107], v[155:156], off offset:576
	s_movk_i32 s2, 0x3000
	v_add_co_u32_e32 v151, vcc, 0x2000, v121
	global_load_dwordx4 v[108:111], v[155:156], off offset:1152
	global_load_dwordx4 v[112:115], v[155:156], off offset:1728
	;; [unrolled: 1-line block ×5, first 2 shown]
	v_add_co_u32_e64 v159, s[2:3], s2, v121
	v_addc_co_u32_e64 v160, s[2:3], 0, v122, s[2:3]
	v_addc_co_u32_e32 v152, vcc, 0, v122, vcc
	global_load_dwordx4 v[135:138], v[159:160], off offset:1536
	global_load_dwordx4 v[139:142], v[159:160], off offset:2112
	global_load_dwordx4 v[143:146], v[159:160], off offset:2688
	global_load_dwordx4 v[147:150], v[159:160], off offset:3264
	s_nop 0
	global_load_dwordx4 v[151:154], v[151:152], off offset:1024
	s_nop 0
	global_load_dwordx4 v[155:158], v[155:156], off offset:4032
	s_movk_i32 s2, 0x4000
	global_load_dwordx4 v[159:162], v[159:160], off offset:3840
	v_add_co_u32_e32 v121, vcc, s2, v121
	v_addc_co_u32_e32 v122, vcc, 0, v122, vcc
	global_load_dwordx4 v[163:166], v[121:122], off offset:320
	global_load_dwordx4 v[167:170], v[121:122], off offset:896
	;; [unrolled: 1-line block ×3, first 2 shown]
	ds_read_b128 v[175:178], v117
	ds_read_b128 v[179:182], v117 offset:576
	ds_read_b128 v[183:186], v117 offset:1152
	;; [unrolled: 1-line block ×11, first 2 shown]
	s_waitcnt vmcnt(14) lgkmcnt(9)
	v_mul_f64 v[223:224], v[185:186], v[110:111]
	v_mul_f64 v[121:122], v[181:182], v[106:107]
	;; [unrolled: 1-line block ×4, first 2 shown]
	s_waitcnt vmcnt(13) lgkmcnt(8)
	v_mul_f64 v[225:226], v[189:190], v[114:115]
	v_mul_f64 v[114:115], v[187:188], v[114:115]
	s_waitcnt vmcnt(12) lgkmcnt(7)
	v_mul_f64 v[227:228], v[193:194], v[125:126]
	v_mul_f64 v[125:126], v[191:192], v[125:126]
	;; [unrolled: 3-line block ×4, first 2 shown]
	s_waitcnt vmcnt(5)
	v_mul_f64 v[241:242], v[177:178], v[153:154]
	v_mul_f64 v[153:154], v[175:176], v[153:154]
	s_waitcnt vmcnt(4) lgkmcnt(4)
	v_mul_f64 v[243:244], v[205:206], v[157:158]
	v_mul_f64 v[157:158], v[203:204], v[157:158]
	v_fma_f64 v[179:180], v[179:180], v[104:105], -v[121:122]
	v_fma_f64 v[181:182], v[181:182], v[104:105], v[106:107]
	v_fma_f64 v[104:105], v[183:184], v[108:109], -v[223:224]
	v_fma_f64 v[106:107], v[185:186], v[108:109], v[110:111]
	;; [unrolled: 2-line block ×4, first 2 shown]
	s_waitcnt lgkmcnt(3)
	v_mul_f64 v[233:234], v[209:210], v[137:138]
	v_mul_f64 v[137:138], v[207:208], v[137:138]
	v_fma_f64 v[121:122], v[195:196], v[127:128], -v[229:230]
	v_fma_f64 v[123:124], v[197:198], v[127:128], v[129:130]
	s_waitcnt lgkmcnt(2)
	v_mul_f64 v[235:236], v[213:214], v[141:142]
	v_mul_f64 v[141:142], v[211:212], v[141:142]
	v_fma_f64 v[125:126], v[199:200], v[131:132], -v[231:232]
	v_fma_f64 v[127:128], v[201:202], v[131:132], v[133:134]
	v_fma_f64 v[131:132], v[175:176], v[151:152], -v[241:242]
	v_fma_f64 v[133:134], v[177:178], v[151:152], v[153:154]
	s_waitcnt lgkmcnt(1)
	v_mul_f64 v[237:238], v[217:218], v[145:146]
	v_mul_f64 v[145:146], v[215:216], v[145:146]
	v_fma_f64 v[151:152], v[203:204], v[155:156], -v[243:244]
	v_fma_f64 v[153:154], v[205:206], v[155:156], v[157:158]
	s_waitcnt lgkmcnt(0)
	v_mul_f64 v[239:240], v[221:222], v[149:150]
	ds_write_b128 v117, v[179:182] offset:576
	ds_write_b128 v117, v[104:107] offset:1152
	;; [unrolled: 1-line block ×6, first 2 shown]
	ds_write_b128 v117, v[131:134]
	ds_write_b128 v117, v[151:154] offset:4032
	v_mul_f64 v[123:124], v[219:220], v[149:150]
	ds_read_b128 v[112:115], v117 offset:6912
	ds_read_b128 v[125:128], v117 offset:7488
	v_fma_f64 v[129:130], v[207:208], v[135:136], -v[233:234]
	v_fma_f64 v[131:132], v[209:210], v[135:136], v[137:138]
	ds_read_b128 v[133:136], v117 offset:8064
	v_fma_f64 v[104:105], v[211:212], v[139:140], -v[235:236]
	v_fma_f64 v[106:107], v[213:214], v[139:140], v[141:142]
	;; [unrolled: 3-line block ×3, first 2 shown]
	s_waitcnt vmcnt(3) lgkmcnt(3)
	v_mul_f64 v[141:142], v[114:115], v[161:162]
	v_mul_f64 v[143:144], v[112:113], v[161:162]
	v_fma_f64 v[121:122], v[219:220], v[147:148], -v[239:240]
	v_fma_f64 v[123:124], v[221:222], v[147:148], v[123:124]
	s_waitcnt vmcnt(2) lgkmcnt(2)
	v_mul_f64 v[145:146], v[127:128], v[165:166]
	v_mul_f64 v[147:148], v[125:126], v[165:166]
	s_waitcnt vmcnt(1) lgkmcnt(1)
	v_mul_f64 v[149:150], v[135:136], v[169:170]
	v_mul_f64 v[151:152], v[133:134], v[169:170]
	;; [unrolled: 3-line block ×3, first 2 shown]
	v_fma_f64 v[112:113], v[112:113], v[159:160], -v[141:142]
	v_fma_f64 v[114:115], v[114:115], v[159:160], v[143:144]
	v_fma_f64 v[125:126], v[125:126], v[163:164], -v[145:146]
	v_fma_f64 v[127:128], v[127:128], v[163:164], v[147:148]
	;; [unrolled: 2-line block ×4, first 2 shown]
	ds_write_b128 v117, v[129:132] offset:4608
	ds_write_b128 v117, v[104:107] offset:5184
	;; [unrolled: 1-line block ×8, first 2 shown]
.LBB0_9:
	s_or_b64 exec, exec, s[8:9]
	s_waitcnt lgkmcnt(0)
	s_barrier
	s_and_saveexec_b64 s[2:3], s[0:1]
	s_cbranch_execz .LBB0_11
; %bb.10:
	ds_read_b128 v[80:83], v117
	ds_read_b128 v[92:95], v117 offset:576
	ds_read_b128 v[84:87], v117 offset:1152
	;; [unrolled: 1-line block ×15, first 2 shown]
.LBB0_11:
	s_or_b64 exec, exec, s[2:3]
	s_waitcnt lgkmcnt(0)
	s_barrier
	s_and_saveexec_b64 s[2:3], s[0:1]
	s_cbranch_execz .LBB0_13
; %bb.12:
	v_add_f64 v[74:75], v[42:43], -v[74:75]
	v_add_f64 v[56:57], v[84:85], -v[56:57]
	;; [unrolled: 1-line block ×16, first 2 shown]
	v_add_f64 v[114:115], v[74:75], v[56:57]
	v_add_f64 v[131:132], v[129:130], v[62:63]
	s_mov_b32 s8, 0x667f3bcd
	s_mov_b32 s9, 0x3fe6a09e
	v_add_f64 v[104:105], v[58:59], -v[72:73]
	v_add_f64 v[106:107], v[46:47], -v[60:61]
	v_add_f64 v[108:109], v[66:67], -v[76:77]
	v_add_f64 v[110:111], v[54:55], -v[68:69]
	v_add_f64 v[121:122], v[78:79], v[64:65]
	v_add_f64 v[123:124], v[70:71], v[52:53]
	v_fma_f64 v[133:134], v[114:115], s[8:9], v[131:132]
	v_fma_f64 v[82:83], v[82:83], 2.0, -v[46:47]
	v_fma_f64 v[62:63], v[90:91], 2.0, -v[62:63]
	v_fma_f64 v[112:113], v[104:105], s[8:9], v[106:107]
	v_fma_f64 v[84:85], v[84:85], 2.0, -v[56:57]
	v_fma_f64 v[40:41], v[40:41], 2.0, -v[72:73]
	v_fma_f64 v[72:73], v[94:95], 2.0, -v[54:55]
	v_fma_f64 v[127:128], v[121:122], s[8:9], v[123:124]
	v_fma_f64 v[70:71], v[102:103], 2.0, -v[70:71]
	;; [unrolled: 4-line block ×3, first 2 shown]
	v_fma_f64 v[68:69], v[100:101], 2.0, -v[68:69]
	v_fma_f64 v[102:103], v[46:47], 2.0, -v[106:107]
	;; [unrolled: 1-line block ×5, first 2 shown]
	s_mov_b32 s11, 0xbfe6a09e
	s_mov_b32 s10, s8
	v_fma_f64 v[125:126], v[108:109], s[8:9], v[110:111]
	v_fma_f64 v[127:128], v[108:109], s[8:9], v[127:128]
	v_add_f64 v[62:63], v[82:83], -v[62:63]
	v_add_f64 v[40:41], v[84:85], -v[40:41]
	;; [unrolled: 1-line block ×4, first 2 shown]
	v_fma_f64 v[96:97], v[98:99], 2.0, -v[66:67]
	v_fma_f64 v[50:51], v[50:51], 2.0, -v[78:79]
	v_add_f64 v[66:67], v[92:93], -v[68:69]
	v_fma_f64 v[58:59], v[86:87], 2.0, -v[58:59]
	v_fma_f64 v[42:43], v[42:43], 2.0, -v[74:75]
	;; [unrolled: 1-line block ×4, first 2 shown]
	v_fma_f64 v[74:75], v[46:47], s[10:11], v[102:103]
	v_fma_f64 v[56:57], v[56:57], 2.0, -v[114:115]
	v_fma_f64 v[80:81], v[54:55], s[10:11], v[104:105]
	v_fma_f64 v[64:65], v[64:65], 2.0, -v[121:122]
	v_fma_f64 v[86:87], v[52:53], 2.0, -v[123:124]
	;; [unrolled: 1-line block ×3, first 2 shown]
	s_mov_b32 s16, 0xcf328d46
	s_mov_b32 s17, 0x3fed906b
	v_fma_f64 v[125:126], v[121:122], s[10:11], v[125:126]
	v_fma_f64 v[78:79], v[127:128], s[16:17], v[94:95]
	v_add_f64 v[98:99], v[62:63], -v[40:41]
	v_add_f64 v[100:101], v[70:71], -v[76:77]
	;; [unrolled: 1-line block ×5, first 2 shown]
	v_fma_f64 v[74:75], v[56:57], s[10:11], v[74:75]
	v_fma_f64 v[80:81], v[64:65], s[10:11], v[80:81]
	v_fma_f64 v[60:61], v[64:65], s[10:11], v[86:87]
	v_fma_f64 v[112:113], v[114:115], s[10:11], v[112:113]
	v_fma_f64 v[56:57], v[56:57], s[10:11], v[88:89]
	s_mov_b32 s18, 0xa6aea964
	s_mov_b32 s19, 0xbfd87de2
	;; [unrolled: 1-line block ×4, first 2 shown]
	v_fma_f64 v[52:53], v[100:101], s[8:9], v[98:99]
	v_add_f64 v[114:115], v[50:51], v[66:67]
	v_fma_f64 v[82:83], v[82:83], 2.0, -v[62:63]
	v_fma_f64 v[58:59], v[58:59], 2.0, -v[108:109]
	;; [unrolled: 1-line block ×4, first 2 shown]
	v_fma_f64 v[42:43], v[125:126], s[20:21], v[78:79]
	v_fma_f64 v[76:77], v[80:81], s[20:21], v[74:75]
	;; [unrolled: 1-line block ×5, first 2 shown]
	s_mov_b32 s23, 0xbfed906b
	s_mov_b32 s22, s16
	v_fma_f64 v[52:53], v[114:115], s[10:11], v[52:53]
	v_add_f64 v[90:91], v[82:83], -v[58:59]
	v_add_f64 v[133:134], v[92:93], -v[64:65]
	v_fma_f64 v[135:136], v[68:69], 2.0, -v[121:122]
	v_fma_f64 v[40:41], v[84:85], 2.0, -v[40:41]
	;; [unrolled: 1-line block ×4, first 2 shown]
	v_fma_f64 v[56:57], v[78:79], s[22:23], v[76:77]
	v_fma_f64 v[44:45], v[127:128], s[18:19], v[44:45]
	v_add_f64 v[108:109], v[121:122], v[108:109]
	v_fma_f64 v[54:55], v[78:79], s[20:21], v[129:130]
	v_add_f64 v[60:61], v[90:91], -v[133:134]
	v_add_f64 v[40:41], v[135:136], -v[40:41]
	v_fma_f64 v[96:97], v[106:107], 2.0, -v[112:113]
	v_add_f64 v[76:77], v[84:85], -v[46:47]
	v_fma_f64 v[106:107], v[110:111], 2.0, -v[125:126]
	v_fma_f64 v[64:65], v[98:99], 2.0, -v[52:53]
	;; [unrolled: 1-line block ×8, first 2 shown]
	v_fma_f64 v[50:51], v[114:115], s[8:9], v[108:109]
	v_fma_f64 v[46:47], v[94:95], 2.0, -v[42:43]
	v_fma_f64 v[112:113], v[131:132], 2.0, -v[94:95]
	;; [unrolled: 1-line block ×6, first 2 shown]
	v_fma_f64 v[54:55], v[80:81], s[16:17], v[54:55]
	v_fma_f64 v[80:81], v[123:124], 2.0, -v[127:128]
	v_fma_f64 v[72:73], v[90:91], 2.0, -v[60:61]
	v_fma_f64 v[110:111], v[106:107], s[18:19], v[96:97]
	v_fma_f64 v[86:87], v[70:71], s[10:11], v[62:63]
	;; [unrolled: 1-line block ×3, first 2 shown]
	v_fma_f64 v[90:91], v[82:83], 2.0, -v[90:91]
	v_fma_f64 v[82:83], v[84:85], 2.0, -v[76:77]
	;; [unrolled: 1-line block ×4, first 2 shown]
	v_fma_f64 v[50:51], v[100:101], s[8:9], v[50:51]
	v_fma_f64 v[100:101], v[78:79], s[22:23], v[94:95]
	;; [unrolled: 1-line block ×4, first 2 shown]
	v_add_f64 v[58:59], v[40:41], v[76:77]
	v_fma_f64 v[76:77], v[80:81], s[22:23], v[110:111]
	v_fma_f64 v[80:81], v[66:67], s[10:11], v[86:87]
	;; [unrolled: 1-line block ×3, first 2 shown]
	v_add_f64 v[88:89], v[90:91], -v[82:83]
	v_add_f64 v[86:87], v[102:103], -v[92:93]
	v_fma_f64 v[82:83], v[74:75], s[20:21], v[100:101]
	v_fma_f64 v[78:79], v[70:71], s[8:9], v[104:105]
	;; [unrolled: 1-line block ×3, first 2 shown]
	v_fma_f64 v[92:93], v[96:97], 2.0, -v[76:77]
	v_fma_f64 v[96:97], v[62:63], 2.0, -v[80:81]
	;; [unrolled: 1-line block ×11, first 2 shown]
	v_lshlrev_b32_e32 v40, 4, v119
	ds_write_b128 v40, v[102:105]
	ds_write_b128 v40, v[98:101] offset:16
	ds_write_b128 v40, v[94:97] offset:32
	ds_write_b128 v40, v[90:93] offset:48
	ds_write_b128 v40, v[70:73] offset:64
	ds_write_b128 v40, v[66:69] offset:80
	ds_write_b128 v40, v[62:65] offset:96
	ds_write_b128 v40, v[46:49] offset:112
	ds_write_b128 v40, v[86:89] offset:128
	ds_write_b128 v40, v[82:85] offset:144
	ds_write_b128 v40, v[78:81] offset:160
	ds_write_b128 v40, v[74:77] offset:176
	ds_write_b128 v40, v[58:61] offset:192
	ds_write_b128 v40, v[54:57] offset:208
	ds_write_b128 v40, v[50:53] offset:224
	ds_write_b128 v40, v[42:45] offset:240
.LBB0_13:
	s_or_b64 exec, exec, s[2:3]
	s_waitcnt lgkmcnt(0)
	s_barrier
	ds_read_b128 v[40:43], v117 offset:3072
	ds_read_b128 v[44:47], v117 offset:6144
	;; [unrolled: 1-line block ×4, first 2 shown]
	ds_read_b128 v[56:59], v117
	ds_read_b128 v[60:63], v117 offset:1536
	s_waitcnt lgkmcnt(5)
	v_mul_f64 v[64:65], v[10:11], v[42:43]
	s_waitcnt lgkmcnt(4)
	v_mul_f64 v[66:67], v[18:19], v[46:47]
	v_mul_f64 v[10:11], v[10:11], v[40:41]
	s_waitcnt lgkmcnt(3)
	v_mul_f64 v[68:69], v[6:7], v[48:49]
	v_mul_f64 v[18:19], v[18:19], v[44:45]
	;; [unrolled: 1-line block ×3, first 2 shown]
	s_mov_b32 s8, 0xe8584caa
	s_mov_b32 s9, 0xbfebb67a
	v_fma_f64 v[40:41], v[8:9], v[40:41], v[64:65]
	v_fma_f64 v[64:65], v[16:17], v[44:45], v[66:67]
	s_waitcnt lgkmcnt(2)
	v_mul_f64 v[44:45], v[14:15], v[52:53]
	s_waitcnt lgkmcnt(0)
	v_mul_f64 v[66:67], v[2:3], v[60:61]
	v_fma_f64 v[8:9], v[8:9], v[42:43], -v[10:11]
	v_fma_f64 v[10:11], v[4:5], v[50:51], -v[68:69]
	v_mul_f64 v[14:15], v[14:15], v[54:55]
	v_fma_f64 v[16:17], v[16:17], v[46:47], -v[18:19]
	v_mul_f64 v[2:3], v[2:3], v[62:63]
	v_add_f64 v[42:43], v[40:41], v[64:65]
	v_fma_f64 v[18:19], v[12:13], v[54:55], -v[44:45]
	v_fma_f64 v[44:45], v[0:1], v[62:63], -v[66:67]
	v_fma_f64 v[4:5], v[4:5], v[48:49], v[6:7]
	s_mov_b32 s3, 0x3febb67a
	v_fma_f64 v[6:7], v[12:13], v[52:53], v[14:15]
	v_add_f64 v[14:15], v[8:9], -v[16:17]
	v_fma_f64 v[0:1], v[0:1], v[60:61], v[2:3]
	v_fma_f64 v[12:13], v[42:43], -0.5, v[56:57]
	v_add_f64 v[42:43], v[10:11], v[18:19]
	v_add_f64 v[52:53], v[58:59], v[8:9]
	;; [unrolled: 1-line block ×3, first 2 shown]
	s_mov_b32 s2, s8
	v_add_f64 v[2:3], v[4:5], v[6:7]
	v_add_f64 v[50:51], v[4:5], -v[6:7]
	v_add_f64 v[54:55], v[10:11], -v[18:19]
	v_fma_f64 v[48:49], v[14:15], s[8:9], v[12:13]
	v_fma_f64 v[42:43], v[42:43], -0.5, v[44:45]
	v_fma_f64 v[14:15], v[14:15], s[2:3], v[12:13]
	v_add_f64 v[46:47], v[56:57], v[40:41]
	v_fma_f64 v[8:9], v[8:9], -0.5, v[58:59]
	v_fma_f64 v[2:3], v[2:3], -0.5, v[0:1]
	v_add_f64 v[0:1], v[0:1], v[4:5]
	v_add_f64 v[10:11], v[44:45], v[10:11]
	v_fma_f64 v[12:13], v[50:51], s[2:3], v[42:43]
	v_fma_f64 v[42:43], v[50:51], s[8:9], v[42:43]
	v_add_f64 v[50:51], v[52:53], v[16:17]
	v_add_f64 v[16:17], v[40:41], -v[64:65]
	v_fma_f64 v[4:5], v[54:55], s[8:9], v[2:3]
	v_fma_f64 v[2:3], v[54:55], s[2:3], v[2:3]
	v_add_f64 v[46:47], v[46:47], v[64:65]
	v_add_f64 v[18:19], v[10:11], v[18:19]
	v_mul_f64 v[40:41], v[12:13], s[8:9]
	v_mul_f64 v[12:13], v[12:13], 0.5
	v_mul_f64 v[52:53], v[42:43], s[8:9]
	v_mul_f64 v[42:43], v[42:43], -0.5
	v_fma_f64 v[44:45], v[16:17], s[2:3], v[8:9]
	v_fma_f64 v[54:55], v[16:17], s[8:9], v[8:9]
	v_add_f64 v[16:17], v[0:1], v[6:7]
	s_barrier
	v_fma_f64 v[40:41], v[4:5], 0.5, v[40:41]
	v_fma_f64 v[56:57], v[4:5], s[2:3], v[12:13]
	v_fma_f64 v[52:53], v[2:3], -0.5, v[52:53]
	v_fma_f64 v[42:43], v[2:3], s[2:3], v[42:43]
	v_add_f64 v[2:3], v[50:51], v[18:19]
	v_add_f64 v[0:1], v[46:47], v[16:17]
	v_add_f64 v[12:13], v[46:47], -v[16:17]
	v_add_f64 v[4:5], v[48:49], v[40:41]
	v_add_f64 v[6:7], v[44:45], v[56:57]
	;; [unrolled: 1-line block ×4, first 2 shown]
	v_add_f64 v[16:17], v[48:49], -v[40:41]
	v_add_f64 v[40:41], v[14:15], -v[52:53]
	;; [unrolled: 1-line block ×5, first 2 shown]
	ds_write_b128 v120, v[0:3]
	ds_write_b128 v120, v[4:7] offset:256
	ds_write_b128 v120, v[8:11] offset:512
	;; [unrolled: 1-line block ×5, first 2 shown]
	s_waitcnt lgkmcnt(0)
	s_barrier
	ds_read_b128 v[0:3], v117 offset:3072
	ds_read_b128 v[4:7], v117 offset:1536
	ds_read_b128 v[8:11], v117 offset:6144
	ds_read_b128 v[12:15], v117 offset:4608
	ds_read_b128 v[16:19], v117 offset:7680
	ds_read_b128 v[40:43], v117
	s_waitcnt lgkmcnt(5)
	v_mul_f64 v[44:45], v[38:39], v[2:3]
	s_waitcnt lgkmcnt(3)
	v_mul_f64 v[46:47], v[34:35], v[10:11]
	;; [unrolled: 2-line block ×4, first 2 shown]
	v_mul_f64 v[48:49], v[22:23], v[4:5]
	v_mul_f64 v[26:27], v[26:27], v[14:15]
	;; [unrolled: 1-line block ×4, first 2 shown]
	v_fma_f64 v[44:45], v[36:37], v[0:1], v[44:45]
	v_mul_f64 v[0:1], v[38:39], v[0:1]
	v_fma_f64 v[38:39], v[32:33], v[8:9], v[46:47]
	v_mul_f64 v[8:9], v[34:35], v[8:9]
	v_fma_f64 v[14:15], v[24:25], v[14:15], -v[50:51]
	v_fma_f64 v[18:19], v[28:29], v[18:19], -v[52:53]
	;; [unrolled: 1-line block ×3, first 2 shown]
	v_fma_f64 v[4:5], v[20:21], v[4:5], v[22:23]
	v_fma_f64 v[0:1], v[36:37], v[2:3], -v[0:1]
	v_fma_f64 v[2:3], v[24:25], v[12:13], v[26:27]
	v_add_f64 v[12:13], v[44:45], v[38:39]
	v_fma_f64 v[8:9], v[32:33], v[10:11], -v[8:9]
	v_fma_f64 v[10:11], v[28:29], v[16:17], v[30:31]
	v_add_f64 v[16:17], v[14:15], v[18:19]
	v_add_f64 v[32:33], v[14:15], -v[18:19]
	s_waitcnt lgkmcnt(0)
	v_add_f64 v[24:25], v[40:41], v[44:45]
	v_add_f64 v[28:29], v[42:43], v[0:1]
	v_fma_f64 v[12:13], v[12:13], -0.5, v[40:41]
	v_add_f64 v[20:21], v[0:1], -v[8:9]
	v_add_f64 v[22:23], v[2:3], v[10:11]
	v_fma_f64 v[16:17], v[16:17], -0.5, v[6:7]
	v_add_f64 v[26:27], v[2:3], -v[10:11]
	v_add_f64 v[0:1], v[0:1], v[8:9]
	v_add_f64 v[2:3], v[4:5], v[2:3]
	;; [unrolled: 1-line block ×4, first 2 shown]
	v_fma_f64 v[30:31], v[20:21], s[8:9], v[12:13]
	v_fma_f64 v[22:23], v[22:23], -0.5, v[4:5]
	v_fma_f64 v[20:21], v[20:21], s[2:3], v[12:13]
	v_fma_f64 v[12:13], v[26:27], s[2:3], v[16:17]
	;; [unrolled: 1-line block ×3, first 2 shown]
	v_add_f64 v[26:27], v[28:29], v[8:9]
	v_fma_f64 v[0:1], v[0:1], -0.5, v[42:43]
	v_add_f64 v[8:9], v[44:45], -v[38:39]
	v_add_f64 v[18:19], v[6:7], v[18:19]
	v_fma_f64 v[4:5], v[32:33], s[8:9], v[22:23]
	v_fma_f64 v[22:23], v[32:33], s[2:3], v[22:23]
	v_mul_f64 v[28:29], v[12:13], s[8:9]
	v_mul_f64 v[12:13], v[12:13], 0.5
	v_mul_f64 v[32:33], v[16:17], s[8:9]
	v_mul_f64 v[14:15], v[16:17], -0.5
	v_add_f64 v[16:17], v[2:3], v[10:11]
	v_fma_f64 v[34:35], v[8:9], s[2:3], v[0:1]
	v_fma_f64 v[36:37], v[8:9], s[8:9], v[0:1]
	v_add_f64 v[2:3], v[26:27], v[18:19]
	v_fma_f64 v[28:29], v[4:5], 0.5, v[28:29]
	v_fma_f64 v[38:39], v[4:5], s[2:3], v[12:13]
	v_fma_f64 v[32:33], v[22:23], -0.5, v[32:33]
	v_fma_f64 v[22:23], v[22:23], s[2:3], v[14:15]
	v_add_f64 v[0:1], v[24:25], v[16:17]
	v_add_f64 v[12:13], v[24:25], -v[16:17]
	v_add_f64 v[14:15], v[26:27], -v[18:19]
	v_add_f64 v[4:5], v[30:31], v[28:29]
	v_add_f64 v[6:7], v[34:35], v[38:39]
	;; [unrolled: 1-line block ×4, first 2 shown]
	v_add_f64 v[16:17], v[30:31], -v[28:29]
	v_add_f64 v[18:19], v[34:35], -v[38:39]
	;; [unrolled: 1-line block ×4, first 2 shown]
	ds_write_b128 v117, v[0:3]
	ds_write_b128 v117, v[4:7] offset:1536
	ds_write_b128 v117, v[8:11] offset:3072
	;; [unrolled: 1-line block ×5, first 2 shown]
	s_waitcnt lgkmcnt(0)
	s_barrier
	s_and_b64 exec, exec, s[0:1]
	s_cbranch_execz .LBB0_15
; %bb.14:
	global_load_dwordx4 v[0:3], v117, s[14:15]
	global_load_dwordx4 v[4:7], v117, s[14:15] offset:576
	global_load_dwordx4 v[8:11], v117, s[14:15] offset:1152
	;; [unrolled: 1-line block ×4, first 2 shown]
	ds_read_b128 v[20:23], v117
	ds_read_b128 v[24:27], v117 offset:576
	ds_read_b128 v[28:31], v117 offset:1152
	;; [unrolled: 1-line block ×3, first 2 shown]
	global_load_dwordx4 v[36:39], v117, s[14:15] offset:2880
	ds_read_b128 v[40:43], v117 offset:2304
	ds_read_b128 v[44:47], v117 offset:2880
	global_load_dwordx4 v[48:51], v117, s[14:15] offset:3456
	global_load_dwordx4 v[52:55], v117, s[14:15] offset:4032
	v_mov_b32_e32 v56, s15
	v_mad_u64_u32 v[74:75], s[2:3], s4, v118, 0
	v_add_co_u32_e32 v92, vcc, s14, v117
	v_mad_u64_u32 v[72:73], s[0:1], s6, v116, 0
	s_mul_hi_u32 s6, s4, 0x240
	s_mul_i32 s2, s4, 0x240
	s_movk_i32 s4, 0x1000
	v_addc_co_u32_e32 v93, vcc, 0, v56, vcc
	v_add_co_u32_e32 v76, vcc, s4, v92
	v_addc_co_u32_e32 v77, vcc, 0, v93, vcc
	global_load_dwordx4 v[56:59], v[76:77], off offset:512
	global_load_dwordx4 v[60:63], v[76:77], off offset:1088
	s_mul_i32 s3, s5, 0x240
	v_mov_b32_e32 v64, v73
	v_mov_b32_e32 v65, v75
	s_add_i32 s3, s6, s3
	v_mad_u64_u32 v[78:79], s[6:7], s7, v116, v[64:65]
	v_mad_u64_u32 v[79:80], s[4:5], s5, v118, v[65:66]
	v_mov_b32_e32 v73, v78
	v_lshlrev_b64 v[72:73], 4, v[72:73]
	v_mov_b32_e32 v75, v79
	v_mov_b32_e32 v81, s13
	global_load_dwordx4 v[64:67], v[76:77], off offset:1664
	global_load_dwordx4 v[68:71], v[76:77], off offset:2240
	v_lshlrev_b64 v[74:75], 4, v[74:75]
	v_add_co_u32_e32 v72, vcc, s12, v72
	v_addc_co_u32_e32 v73, vcc, v81, v73, vcc
	v_add_co_u32_e32 v72, vcc, v72, v74
	v_addc_co_u32_e32 v73, vcc, v73, v75, vcc
	v_mov_b32_e32 v82, s3
	v_add_co_u32_e32 v74, vcc, s2, v72
	v_addc_co_u32_e32 v75, vcc, v73, v82, vcc
	v_mov_b32_e32 v83, s3
	;; [unrolled: 3-line block ×3, first 2 shown]
	v_add_co_u32_e32 v80, vcc, s2, v78
	v_addc_co_u32_e32 v81, vcc, v79, v84, vcc
	s_mov_b32 s0, 0x1c71c71c
	s_mov_b32 s1, 0x3f5c71c7
	s_movk_i32 s4, 0x2000
	s_waitcnt vmcnt(11) lgkmcnt(5)
	v_mul_f64 v[82:83], v[22:23], v[2:3]
	v_mul_f64 v[2:3], v[20:21], v[2:3]
	s_waitcnt vmcnt(10) lgkmcnt(4)
	v_mul_f64 v[84:85], v[26:27], v[6:7]
	v_mul_f64 v[6:7], v[24:25], v[6:7]
	;; [unrolled: 3-line block ×4, first 2 shown]
	v_fma_f64 v[20:21], v[20:21], v[0:1], v[82:83]
	v_fma_f64 v[2:3], v[0:1], v[22:23], -v[2:3]
	v_fma_f64 v[22:23], v[24:25], v[4:5], v[84:85]
	v_fma_f64 v[6:7], v[4:5], v[26:27], -v[6:7]
	;; [unrolled: 2-line block ×4, first 2 shown]
	s_waitcnt vmcnt(7) lgkmcnt(1)
	v_mul_f64 v[90:91], v[42:43], v[18:19]
	v_mul_f64 v[18:19], v[40:41], v[18:19]
	;; [unrolled: 1-line block ×10, first 2 shown]
	v_fma_f64 v[20:21], v[40:41], v[16:17], v[90:91]
	v_fma_f64 v[16:17], v[16:17], v[42:43], -v[18:19]
	s_waitcnt vmcnt(6) lgkmcnt(0)
	v_mul_f64 v[18:19], v[46:47], v[38:39]
	v_mul_f64 v[22:23], v[44:45], v[38:39]
	global_store_dwordx4 v[72:73], v[0:3], off
	global_store_dwordx4 v[74:75], v[4:7], off
	;; [unrolled: 1-line block ×4, first 2 shown]
	ds_read_b128 v[4:7], v117 offset:3456
	ds_read_b128 v[8:11], v117 offset:4032
	v_mul_f64 v[0:1], v[20:21], s[0:1]
	v_mul_f64 v[2:3], v[16:17], s[0:1]
	v_fma_f64 v[12:13], v[44:45], v[36:37], v[18:19]
	v_fma_f64 v[14:15], v[36:37], v[46:47], -v[22:23]
	s_waitcnt vmcnt(9) lgkmcnt(1)
	v_mul_f64 v[16:17], v[6:7], v[50:51]
	v_mul_f64 v[18:19], v[4:5], v[50:51]
	v_mov_b32_e32 v21, s3
	v_add_co_u32_e32 v20, vcc, s2, v80
	v_addc_co_u32_e32 v21, vcc, v81, v21, vcc
	global_store_dwordx4 v[20:21], v[0:3], off
	v_fma_f64 v[4:5], v[4:5], v[48:49], v[16:17]
	v_mul_f64 v[0:1], v[12:13], s[0:1]
	v_mul_f64 v[2:3], v[14:15], s[0:1]
	v_fma_f64 v[6:7], v[48:49], v[6:7], -v[18:19]
	s_waitcnt vmcnt(9) lgkmcnt(0)
	v_mul_f64 v[12:13], v[10:11], v[54:55]
	v_mul_f64 v[14:15], v[8:9], v[54:55]
	v_mov_b32_e32 v22, s3
	v_add_co_u32_e32 v16, vcc, s2, v20
	v_addc_co_u32_e32 v17, vcc, v21, v22, vcc
	global_store_dwordx4 v[16:17], v[0:3], off
	v_fma_f64 v[12:13], v[8:9], v[52:53], v[12:13]
	v_mul_f64 v[0:1], v[4:5], s[0:1]
	v_mul_f64 v[2:3], v[6:7], s[0:1]
	ds_read_b128 v[4:7], v117 offset:4608
	v_fma_f64 v[14:15], v[52:53], v[10:11], -v[14:15]
	ds_read_b128 v[8:11], v117 offset:5184
	v_add_co_u32_e32 v16, vcc, s2, v16
	s_waitcnt vmcnt(9) lgkmcnt(1)
	v_mul_f64 v[18:19], v[6:7], v[58:59]
	v_mul_f64 v[20:21], v[4:5], v[58:59]
	v_addc_co_u32_e32 v17, vcc, v17, v22, vcc
	global_store_dwordx4 v[16:17], v[0:3], off
	v_add_co_u32_e32 v16, vcc, s2, v16
	v_mul_f64 v[0:1], v[12:13], s[0:1]
	v_mul_f64 v[2:3], v[14:15], s[0:1]
	v_fma_f64 v[4:5], v[4:5], v[56:57], v[18:19]
	v_fma_f64 v[6:7], v[56:57], v[6:7], -v[20:21]
	s_waitcnt vmcnt(9) lgkmcnt(0)
	v_mul_f64 v[12:13], v[10:11], v[62:63]
	v_mul_f64 v[14:15], v[8:9], v[62:63]
	v_addc_co_u32_e32 v17, vcc, v17, v22, vcc
	v_mov_b32_e32 v18, s3
	global_store_dwordx4 v[16:17], v[0:3], off
	v_add_co_u32_e32 v16, vcc, s2, v16
	v_mul_f64 v[0:1], v[4:5], s[0:1]
	v_mul_f64 v[2:3], v[6:7], s[0:1]
	v_fma_f64 v[12:13], v[8:9], v[60:61], v[12:13]
	v_fma_f64 v[14:15], v[60:61], v[10:11], -v[14:15]
	ds_read_b128 v[4:7], v117 offset:5760
	ds_read_b128 v[8:11], v117 offset:6336
	v_addc_co_u32_e32 v17, vcc, v17, v18, vcc
	s_waitcnt vmcnt(9) lgkmcnt(1)
	v_mul_f64 v[18:19], v[6:7], v[66:67]
	v_mul_f64 v[20:21], v[4:5], v[66:67]
	s_waitcnt vmcnt(8) lgkmcnt(0)
	v_mul_f64 v[22:23], v[10:11], v[70:71]
	v_mul_f64 v[24:25], v[8:9], v[70:71]
	global_store_dwordx4 v[16:17], v[0:3], off
	v_fma_f64 v[4:5], v[4:5], v[64:65], v[18:19]
	v_mul_f64 v[0:1], v[12:13], s[0:1]
	v_mul_f64 v[2:3], v[14:15], s[0:1]
	v_fma_f64 v[6:7], v[64:65], v[6:7], -v[20:21]
	v_fma_f64 v[8:9], v[8:9], v[68:69], v[22:23]
	v_fma_f64 v[10:11], v[68:69], v[10:11], -v[24:25]
	v_mov_b32_e32 v13, s3
	v_add_co_u32_e32 v12, vcc, s2, v16
	v_addc_co_u32_e32 v13, vcc, v17, v13, vcc
	global_store_dwordx4 v[12:13], v[0:3], off
	v_mov_b32_e32 v14, s3
	v_mul_f64 v[0:1], v[4:5], s[0:1]
	v_mul_f64 v[2:3], v[6:7], s[0:1]
	;; [unrolled: 1-line block ×4, first 2 shown]
	v_add_co_u32_e32 v8, vcc, s2, v12
	v_addc_co_u32_e32 v9, vcc, v13, v14, vcc
	v_add_co_u32_e32 v12, vcc, s2, v8
	global_store_dwordx4 v[8:9], v[0:3], off
	s_nop 0
	v_mov_b32_e32 v0, s3
	v_addc_co_u32_e32 v13, vcc, v9, v0, vcc
	global_store_dwordx4 v[12:13], v[4:7], off
	global_load_dwordx4 v[0:3], v[76:77], off offset:2816
	ds_read_b128 v[4:7], v117 offset:6912
	ds_read_b128 v[8:11], v117 offset:7488
	s_waitcnt vmcnt(0) lgkmcnt(1)
	v_mul_f64 v[14:15], v[6:7], v[2:3]
	v_mul_f64 v[2:3], v[4:5], v[2:3]
	v_fma_f64 v[4:5], v[4:5], v[0:1], v[14:15]
	v_fma_f64 v[2:3], v[0:1], v[6:7], -v[2:3]
	v_mul_f64 v[0:1], v[4:5], s[0:1]
	v_mul_f64 v[2:3], v[2:3], s[0:1]
	v_mov_b32_e32 v5, s3
	v_add_co_u32_e32 v4, vcc, s2, v12
	v_addc_co_u32_e32 v5, vcc, v13, v5, vcc
	v_add_co_u32_e32 v12, vcc, s2, v4
	global_store_dwordx4 v[4:5], v[0:3], off
	global_load_dwordx4 v[0:3], v[76:77], off offset:3392
	s_waitcnt vmcnt(0) lgkmcnt(0)
	v_mul_f64 v[6:7], v[10:11], v[2:3]
	v_mul_f64 v[2:3], v[8:9], v[2:3]
	v_fma_f64 v[6:7], v[8:9], v[0:1], v[6:7]
	v_fma_f64 v[2:3], v[0:1], v[10:11], -v[2:3]
	v_mul_f64 v[0:1], v[6:7], s[0:1]
	v_mul_f64 v[2:3], v[2:3], s[0:1]
	v_mov_b32_e32 v6, s3
	v_addc_co_u32_e32 v13, vcc, v5, v6, vcc
	global_store_dwordx4 v[12:13], v[0:3], off
	global_load_dwordx4 v[0:3], v[76:77], off offset:3968
	ds_read_b128 v[4:7], v117 offset:8064
	ds_read_b128 v[8:11], v117 offset:8640
	s_waitcnt vmcnt(0) lgkmcnt(1)
	v_mul_f64 v[14:15], v[6:7], v[2:3]
	v_mul_f64 v[2:3], v[4:5], v[2:3]
	v_fma_f64 v[4:5], v[4:5], v[0:1], v[14:15]
	v_fma_f64 v[2:3], v[0:1], v[6:7], -v[2:3]
	v_mov_b32_e32 v7, s3
	v_mul_f64 v[0:1], v[4:5], s[0:1]
	v_mul_f64 v[2:3], v[2:3], s[0:1]
	v_add_co_u32_e32 v4, vcc, s4, v92
	v_addc_co_u32_e32 v5, vcc, 0, v93, vcc
	v_add_co_u32_e32 v6, vcc, s2, v12
	v_addc_co_u32_e32 v7, vcc, v13, v7, vcc
	global_store_dwordx4 v[6:7], v[0:3], off
	global_load_dwordx4 v[0:3], v[4:5], off offset:448
	s_waitcnt vmcnt(0) lgkmcnt(0)
	v_mul_f64 v[4:5], v[10:11], v[2:3]
	v_mul_f64 v[2:3], v[8:9], v[2:3]
	v_fma_f64 v[4:5], v[8:9], v[0:1], v[4:5]
	v_fma_f64 v[2:3], v[0:1], v[10:11], -v[2:3]
	v_mul_f64 v[0:1], v[4:5], s[0:1]
	v_mul_f64 v[2:3], v[2:3], s[0:1]
	v_mov_b32_e32 v5, s3
	v_add_co_u32_e32 v4, vcc, s2, v6
	v_addc_co_u32_e32 v5, vcc, v7, v5, vcc
	global_store_dwordx4 v[4:5], v[0:3], off
.LBB0_15:
	s_endpgm
	.section	.rodata,"a",@progbits
	.p2align	6, 0x0
	.amdhsa_kernel bluestein_single_back_len576_dim1_dp_op_CI_CI
		.amdhsa_group_segment_fixed_size 9216
		.amdhsa_private_segment_fixed_size 0
		.amdhsa_kernarg_size 104
		.amdhsa_user_sgpr_count 6
		.amdhsa_user_sgpr_private_segment_buffer 1
		.amdhsa_user_sgpr_dispatch_ptr 0
		.amdhsa_user_sgpr_queue_ptr 0
		.amdhsa_user_sgpr_kernarg_segment_ptr 1
		.amdhsa_user_sgpr_dispatch_id 0
		.amdhsa_user_sgpr_flat_scratch_init 0
		.amdhsa_user_sgpr_private_segment_size 0
		.amdhsa_uses_dynamic_stack 0
		.amdhsa_system_sgpr_private_segment_wavefront_offset 0
		.amdhsa_system_sgpr_workgroup_id_x 1
		.amdhsa_system_sgpr_workgroup_id_y 0
		.amdhsa_system_sgpr_workgroup_id_z 0
		.amdhsa_system_sgpr_workgroup_info 0
		.amdhsa_system_vgpr_workitem_id 0
		.amdhsa_next_free_vgpr 245
		.amdhsa_next_free_sgpr 24
		.amdhsa_reserve_vcc 1
		.amdhsa_reserve_flat_scratch 0
		.amdhsa_float_round_mode_32 0
		.amdhsa_float_round_mode_16_64 0
		.amdhsa_float_denorm_mode_32 3
		.amdhsa_float_denorm_mode_16_64 3
		.amdhsa_dx10_clamp 1
		.amdhsa_ieee_mode 1
		.amdhsa_fp16_overflow 0
		.amdhsa_exception_fp_ieee_invalid_op 0
		.amdhsa_exception_fp_denorm_src 0
		.amdhsa_exception_fp_ieee_div_zero 0
		.amdhsa_exception_fp_ieee_overflow 0
		.amdhsa_exception_fp_ieee_underflow 0
		.amdhsa_exception_fp_ieee_inexact 0
		.amdhsa_exception_int_div_zero 0
	.end_amdhsa_kernel
	.text
.Lfunc_end0:
	.size	bluestein_single_back_len576_dim1_dp_op_CI_CI, .Lfunc_end0-bluestein_single_back_len576_dim1_dp_op_CI_CI
                                        ; -- End function
	.section	.AMDGPU.csdata,"",@progbits
; Kernel info:
; codeLenInByte = 10048
; NumSgprs: 28
; NumVgprs: 245
; ScratchSize: 0
; MemoryBound: 0
; FloatMode: 240
; IeeeMode: 1
; LDSByteSize: 9216 bytes/workgroup (compile time only)
; SGPRBlocks: 3
; VGPRBlocks: 61
; NumSGPRsForWavesPerEU: 28
; NumVGPRsForWavesPerEU: 245
; Occupancy: 1
; WaveLimiterHint : 1
; COMPUTE_PGM_RSRC2:SCRATCH_EN: 0
; COMPUTE_PGM_RSRC2:USER_SGPR: 6
; COMPUTE_PGM_RSRC2:TRAP_HANDLER: 0
; COMPUTE_PGM_RSRC2:TGID_X_EN: 1
; COMPUTE_PGM_RSRC2:TGID_Y_EN: 0
; COMPUTE_PGM_RSRC2:TGID_Z_EN: 0
; COMPUTE_PGM_RSRC2:TIDIG_COMP_CNT: 0
	.type	__hip_cuid_3ea4949ce3fdf309,@object ; @__hip_cuid_3ea4949ce3fdf309
	.section	.bss,"aw",@nobits
	.globl	__hip_cuid_3ea4949ce3fdf309
__hip_cuid_3ea4949ce3fdf309:
	.byte	0                               ; 0x0
	.size	__hip_cuid_3ea4949ce3fdf309, 1

	.ident	"AMD clang version 19.0.0git (https://github.com/RadeonOpenCompute/llvm-project roc-6.4.0 25133 c7fe45cf4b819c5991fe208aaa96edf142730f1d)"
	.section	".note.GNU-stack","",@progbits
	.addrsig
	.addrsig_sym __hip_cuid_3ea4949ce3fdf309
	.amdgpu_metadata
---
amdhsa.kernels:
  - .args:
      - .actual_access:  read_only
        .address_space:  global
        .offset:         0
        .size:           8
        .value_kind:     global_buffer
      - .actual_access:  read_only
        .address_space:  global
        .offset:         8
        .size:           8
        .value_kind:     global_buffer
      - .actual_access:  read_only
        .address_space:  global
        .offset:         16
        .size:           8
        .value_kind:     global_buffer
      - .actual_access:  read_only
        .address_space:  global
        .offset:         24
        .size:           8
        .value_kind:     global_buffer
      - .actual_access:  read_only
        .address_space:  global
        .offset:         32
        .size:           8
        .value_kind:     global_buffer
      - .offset:         40
        .size:           8
        .value_kind:     by_value
      - .address_space:  global
        .offset:         48
        .size:           8
        .value_kind:     global_buffer
      - .address_space:  global
        .offset:         56
        .size:           8
        .value_kind:     global_buffer
      - .address_space:  global
        .offset:         64
        .size:           8
        .value_kind:     global_buffer
      - .address_space:  global
        .offset:         72
        .size:           8
        .value_kind:     global_buffer
      - .offset:         80
        .size:           4
        .value_kind:     by_value
      - .address_space:  global
        .offset:         88
        .size:           8
        .value_kind:     global_buffer
      - .address_space:  global
        .offset:         96
        .size:           8
        .value_kind:     global_buffer
    .group_segment_fixed_size: 9216
    .kernarg_segment_align: 8
    .kernarg_segment_size: 104
    .language:       OpenCL C
    .language_version:
      - 2
      - 0
    .max_flat_workgroup_size: 96
    .name:           bluestein_single_back_len576_dim1_dp_op_CI_CI
    .private_segment_fixed_size: 0
    .sgpr_count:     28
    .sgpr_spill_count: 0
    .symbol:         bluestein_single_back_len576_dim1_dp_op_CI_CI.kd
    .uniform_work_group_size: 1
    .uses_dynamic_stack: false
    .vgpr_count:     245
    .vgpr_spill_count: 0
    .wavefront_size: 64
amdhsa.target:   amdgcn-amd-amdhsa--gfx906
amdhsa.version:
  - 1
  - 2
...

	.end_amdgpu_metadata
